;; amdgpu-corpus repo=zjin-lcf/HeCBench kind=compiled arch=gfx1100 opt=O3
	.text
	.amdgcn_target "amdgcn-amd-amdhsa--gfx1100"
	.amdhsa_code_object_version 6
	.section	.text._Z45unrolled_elementwise_kernel_for_multi_outputsILi2EZ4mainEUlffffE_5ArrayIPcLi6EE23TrivialOffsetCalculatorILi4EjES4_ILi2EjEEviT0_T1_T2_T3_,"axG",@progbits,_Z45unrolled_elementwise_kernel_for_multi_outputsILi2EZ4mainEUlffffE_5ArrayIPcLi6EE23TrivialOffsetCalculatorILi4EjES4_ILi2EjEEviT0_T1_T2_T3_,comdat
	.globl	_Z45unrolled_elementwise_kernel_for_multi_outputsILi2EZ4mainEUlffffE_5ArrayIPcLi6EE23TrivialOffsetCalculatorILi4EjES4_ILi2EjEEviT0_T1_T2_T3_ ; -- Begin function _Z45unrolled_elementwise_kernel_for_multi_outputsILi2EZ4mainEUlffffE_5ArrayIPcLi6EE23TrivialOffsetCalculatorILi4EjES4_ILi2EjEEviT0_T1_T2_T3_
	.p2align	8
	.type	_Z45unrolled_elementwise_kernel_for_multi_outputsILi2EZ4mainEUlffffE_5ArrayIPcLi6EE23TrivialOffsetCalculatorILi4EjES4_ILi2EjEEviT0_T1_T2_T3_,@function
_Z45unrolled_elementwise_kernel_for_multi_outputsILi2EZ4mainEUlffffE_5ArrayIPcLi6EE23TrivialOffsetCalculatorILi4EjES4_ILi2EjEEviT0_T1_T2_T3_: ; @_Z45unrolled_elementwise_kernel_for_multi_outputsILi2EZ4mainEUlffffE_5ArrayIPcLi6EE23TrivialOffsetCalculatorILi4EjES4_ILi2EjEEviT0_T1_T2_T3_
; %bb.0:
	s_load_b64 s[0:1], s[0:1], 0x4
	s_load_b32 s12, s[2:3], 0x0
	s_mov_b32 s16, 0
	s_clause 0x1
	s_load_b256 s[4:11], s[2:3], 0x8
	s_load_b128 s[20:23], s[2:3], 0x28
	s_mov_b32 s17, s16
	s_mov_b32 s18, s16
	;; [unrolled: 1-line block ×3, first 2 shown]
	v_and_b32_e32 v2, 0x3ff, v0
	v_dual_mov_b32 v4, s16 :: v_dual_mov_b32 v7, s19
	v_mov_b32_e32 v5, s17
	v_bfe_u32 v3, v0, 10, 10
	v_bfe_u32 v0, v0, 20, 10
	v_mov_b32_e32 v6, s18
	s_clause 0x1
	scratch_store_b128 off, v[4:7], off
	scratch_store_b128 off, v[4:7], off offset:16
	s_waitcnt lgkmcnt(0)
	s_lshr_b32 s0, s0, 16
	s_delay_alu instid0(SALU_CYCLE_1) | instskip(NEXT) | instid1(SALU_CYCLE_1)
	s_mul_i32 s0, s0, s1
	v_mul_lo_u32 v1, s0, v2
	s_delay_alu instid0(VALU_DEP_1) | instskip(SKIP_1) | instid1(SALU_CYCLE_1)
	v_mad_u32_u24 v1, v3, s1, v1
	s_lshl_b32 s1, s15, 9
	s_sub_i32 s2, s12, s1
	s_delay_alu instid0(SALU_CYCLE_1) | instskip(NEXT) | instid1(VALU_DEP_2)
	v_cmp_gt_i32_e32 vcc_lo, s2, v2
	v_add_lshl_u32 v3, v1, v0, 6
	ds_store_b128 v3, v[4:7]
	ds_store_b128 v3, v[4:7] offset:16
	ds_store_b128 v3, v[4:7] offset:32
	;; [unrolled: 1-line block ×3, first 2 shown]
	s_and_saveexec_b32 s3, vcc_lo
	s_cbranch_execz .LBB0_3
; %bb.1:
	v_dual_mov_b32 v1, 0 :: v_dual_mov_b32 v4, v3
	v_mov_b32_e32 v5, v2
	s_mov_b32 s12, 0
	s_set_inst_prefetch_distance 0x1
	.p2align	6
.LBB0_2:                                ; =>This Inner Loop Header: Depth=1
	s_delay_alu instid0(VALU_DEP_1)
	v_add_nc_u32_e32 v0, s1, v5
	v_add_nc_u32_e32 v5, 0x80, v5
	s_add_i32 s13, s12, 1
	s_cmp_gt_u32 s12, 2
	s_cselect_b32 s12, -1, 0
	v_lshlrev_b64 v[6:7], 2, v[0:1]
	s_delay_alu instid0(VALU_DEP_1) | instskip(NEXT) | instid1(VALU_DEP_1)
	v_add_co_u32 v8, s0, s8, v6
	v_add_co_ci_u32_e64 v9, s0, s9, v7, s0
	v_add_co_u32 v10, s0, s10, v6
	s_delay_alu instid0(VALU_DEP_1) | instskip(SKIP_1) | instid1(VALU_DEP_1)
	v_add_co_ci_u32_e64 v11, s0, s11, v7, s0
	v_add_co_u32 v12, s0, s20, v6
	v_add_co_ci_u32_e64 v13, s0, s21, v7, s0
	v_add_co_u32 v14, s0, s22, v6
	s_delay_alu instid0(VALU_DEP_1)
	v_add_co_ci_u32_e64 v15, s0, s23, v7, s0
	global_load_b32 v9, v[8:9], off
	global_load_b32 v8, v[10:11], off
	;; [unrolled: 1-line block ×4, first 2 shown]
	v_cmp_le_i32_e64 s0, s2, v5
	s_delay_alu instid0(VALU_DEP_1) | instskip(SKIP_2) | instid1(SALU_CYCLE_1)
	s_or_b32 s0, s12, s0
	s_mov_b32 s12, s13
	s_and_b32 s0, exec_lo, s0
	s_or_b32 s16, s0, s16
	s_waitcnt vmcnt(0)
	ds_store_b128 v4, v[6:9]
	v_add_nc_u32_e32 v4, 16, v4
	s_and_not1_b32 exec_lo, exec_lo, s16
	s_cbranch_execnz .LBB0_2
.LBB0_3:
	s_set_inst_prefetch_distance 0x2
	s_or_b32 exec_lo, exec_lo, s3
	s_delay_alu instid0(SALU_CYCLE_1)
	s_mov_b32 s3, exec_lo
	v_cmpx_gt_u32_e64 s2, v2
	s_cbranch_execz .LBB0_5
; %bb.4:
	ds_load_b128 v[4:7], v3
	s_waitcnt lgkmcnt(0)
	v_mul_f32_e32 v0, v6, v4
	v_mul_f32_e32 v1, v7, v4
	s_delay_alu instid0(VALU_DEP_2) | instskip(NEXT) | instid1(VALU_DEP_2)
	v_fma_f32 v0, v7, v5, -v0
	v_fmac_f32_e32 v1, v6, v5
	scratch_store_b64 off, v[0:1], off
.LBB0_5:
	s_or_b32 exec_lo, exec_lo, s3
	v_add_nc_u32_e32 v0, 0x80, v2
	s_mov_b32 s3, exec_lo
	s_delay_alu instid0(VALU_DEP_1)
	v_cmpx_gt_u32_e64 s2, v0
	s_cbranch_execz .LBB0_7
; %bb.6:
	ds_load_b128 v[4:7], v3 offset:16
	s_waitcnt lgkmcnt(0)
	v_mul_f32_e32 v0, v6, v4
	v_mul_f32_e32 v1, v7, v4
	s_delay_alu instid0(VALU_DEP_2) | instskip(NEXT) | instid1(VALU_DEP_2)
	v_fma_f32 v0, v7, v5, -v0
	v_fmac_f32_e32 v1, v6, v5
	scratch_store_b64 off, v[0:1], off offset:8
.LBB0_7:
	s_or_b32 exec_lo, exec_lo, s3
	v_add_nc_u32_e32 v0, 0x100, v2
	s_mov_b32 s3, exec_lo
	s_delay_alu instid0(VALU_DEP_1)
	v_cmpx_gt_u32_e64 s2, v0
	s_cbranch_execz .LBB0_9
; %bb.8:
	ds_load_b128 v[4:7], v3 offset:32
	s_waitcnt lgkmcnt(0)
	v_mul_f32_e32 v0, v6, v4
	v_mul_f32_e32 v1, v7, v4
	s_delay_alu instid0(VALU_DEP_2) | instskip(NEXT) | instid1(VALU_DEP_2)
	v_fma_f32 v0, v7, v5, -v0
	v_fmac_f32_e32 v1, v6, v5
	scratch_store_b64 off, v[0:1], off offset:16
.LBB0_9:
	;; [unrolled: 16-line block ×3, first 2 shown]
	s_or_b32 exec_lo, exec_lo, s3
	s_and_saveexec_b32 s0, vcc_lo
	s_delay_alu instid0(SALU_CYCLE_1)
	s_xor_b32 s0, exec_lo, s0
	s_cbranch_execz .LBB0_14
; %bb.12:
	v_or_b32_e64 v3, 0, 4
	v_mov_b32_e32 v1, 0
	s_mov_b32 s0, 0
	s_mov_b32 s3, 0
	.p2align	6
.LBB0_13:                               ; =>This Inner Loop Header: Depth=1
	scratch_load_b64 v[4:5], v3, off offset:-4
	v_add_nc_u32_e32 v0, s1, v2
	v_add_nc_u32_e32 v2, 0x80, v2
	s_add_i32 s8, s3, 1
	s_cmp_gt_u32 s3, 2
	v_add_nc_u32_e32 v3, 8, v3
	v_lshlrev_b64 v[6:7], 2, v[0:1]
	v_cmp_le_i32_e32 vcc_lo, s2, v2
	s_cselect_b32 s3, -1, 0
	s_delay_alu instid0(SALU_CYCLE_1) | instskip(NEXT) | instid1(VALU_DEP_2)
	s_or_b32 s3, s3, vcc_lo
	v_add_co_u32 v8, vcc_lo, s4, v6
	s_delay_alu instid0(VALU_DEP_3)
	v_add_co_ci_u32_e32 v9, vcc_lo, s5, v7, vcc_lo
	v_add_co_u32 v6, vcc_lo, s6, v6
	v_add_co_ci_u32_e32 v7, vcc_lo, s7, v7, vcc_lo
	s_and_b32 s9, exec_lo, s3
	s_mov_b32 s3, s8
	s_or_b32 s0, s9, s0
	s_waitcnt vmcnt(0)
	global_store_b32 v[8:9], v4, off
	global_store_b32 v[6:7], v5, off
	s_and_not1_b32 exec_lo, exec_lo, s0
	s_cbranch_execnz .LBB0_13
.LBB0_14:
	s_endpgm
	.section	.rodata,"a",@progbits
	.p2align	6, 0x0
	.amdhsa_kernel _Z45unrolled_elementwise_kernel_for_multi_outputsILi2EZ4mainEUlffffE_5ArrayIPcLi6EE23TrivialOffsetCalculatorILi4EjES4_ILi2EjEEviT0_T1_T2_T3_
		.amdhsa_group_segment_fixed_size 65536
		.amdhsa_private_segment_fixed_size 48
		.amdhsa_kernarg_size 60
		.amdhsa_user_sgpr_count 15
		.amdhsa_user_sgpr_dispatch_ptr 1
		.amdhsa_user_sgpr_queue_ptr 0
		.amdhsa_user_sgpr_kernarg_segment_ptr 1
		.amdhsa_user_sgpr_dispatch_id 0
		.amdhsa_user_sgpr_private_segment_size 0
		.amdhsa_wavefront_size32 1
		.amdhsa_uses_dynamic_stack 0
		.amdhsa_enable_private_segment 1
		.amdhsa_system_sgpr_workgroup_id_x 1
		.amdhsa_system_sgpr_workgroup_id_y 0
		.amdhsa_system_sgpr_workgroup_id_z 0
		.amdhsa_system_sgpr_workgroup_info 0
		.amdhsa_system_vgpr_workitem_id 2
		.amdhsa_next_free_vgpr 16
		.amdhsa_next_free_sgpr 24
		.amdhsa_reserve_vcc 1
		.amdhsa_float_round_mode_32 0
		.amdhsa_float_round_mode_16_64 0
		.amdhsa_float_denorm_mode_32 3
		.amdhsa_float_denorm_mode_16_64 3
		.amdhsa_dx10_clamp 1
		.amdhsa_ieee_mode 1
		.amdhsa_fp16_overflow 0
		.amdhsa_workgroup_processor_mode 1
		.amdhsa_memory_ordered 1
		.amdhsa_forward_progress 0
		.amdhsa_shared_vgpr_count 0
		.amdhsa_exception_fp_ieee_invalid_op 0
		.amdhsa_exception_fp_denorm_src 0
		.amdhsa_exception_fp_ieee_div_zero 0
		.amdhsa_exception_fp_ieee_overflow 0
		.amdhsa_exception_fp_ieee_underflow 0
		.amdhsa_exception_fp_ieee_inexact 0
		.amdhsa_exception_int_div_zero 0
	.end_amdhsa_kernel
	.section	.text._Z45unrolled_elementwise_kernel_for_multi_outputsILi2EZ4mainEUlffffE_5ArrayIPcLi6EE23TrivialOffsetCalculatorILi4EjES4_ILi2EjEEviT0_T1_T2_T3_,"axG",@progbits,_Z45unrolled_elementwise_kernel_for_multi_outputsILi2EZ4mainEUlffffE_5ArrayIPcLi6EE23TrivialOffsetCalculatorILi4EjES4_ILi2EjEEviT0_T1_T2_T3_,comdat
.Lfunc_end0:
	.size	_Z45unrolled_elementwise_kernel_for_multi_outputsILi2EZ4mainEUlffffE_5ArrayIPcLi6EE23TrivialOffsetCalculatorILi4EjES4_ILi2EjEEviT0_T1_T2_T3_, .Lfunc_end0-_Z45unrolled_elementwise_kernel_for_multi_outputsILi2EZ4mainEUlffffE_5ArrayIPcLi6EE23TrivialOffsetCalculatorILi4EjES4_ILi2EjEEviT0_T1_T2_T3_
                                        ; -- End function
	.section	.AMDGPU.csdata,"",@progbits
; Kernel info:
; codeLenInByte = 896
; NumSgprs: 26
; NumVgprs: 16
; ScratchSize: 48
; MemoryBound: 0
; FloatMode: 240
; IeeeMode: 1
; LDSByteSize: 65536 bytes/workgroup (compile time only)
; SGPRBlocks: 3
; VGPRBlocks: 1
; NumSGPRsForWavesPerEU: 26
; NumVGPRsForWavesPerEU: 16
; Occupancy: 16
; WaveLimiterHint : 0
; COMPUTE_PGM_RSRC2:SCRATCH_EN: 1
; COMPUTE_PGM_RSRC2:USER_SGPR: 15
; COMPUTE_PGM_RSRC2:TRAP_HANDLER: 0
; COMPUTE_PGM_RSRC2:TGID_X_EN: 1
; COMPUTE_PGM_RSRC2:TGID_Y_EN: 0
; COMPUTE_PGM_RSRC2:TGID_Z_EN: 0
; COMPUTE_PGM_RSRC2:TIDIG_COMP_CNT: 2
	.text
	.p2alignl 7, 3214868480
	.fill 96, 4, 3214868480
	.type	__hip_cuid_1cb7bb2d4ef8f740,@object ; @__hip_cuid_1cb7bb2d4ef8f740
	.section	.bss,"aw",@nobits
	.globl	__hip_cuid_1cb7bb2d4ef8f740
__hip_cuid_1cb7bb2d4ef8f740:
	.byte	0                               ; 0x0
	.size	__hip_cuid_1cb7bb2d4ef8f740, 1

	.ident	"AMD clang version 19.0.0git (https://github.com/RadeonOpenCompute/llvm-project roc-6.4.0 25133 c7fe45cf4b819c5991fe208aaa96edf142730f1d)"
	.section	".note.GNU-stack","",@progbits
	.addrsig
	.addrsig_sym __hip_cuid_1cb7bb2d4ef8f740
	.amdgpu_metadata
---
amdhsa.kernels:
  - .args:
      - .offset:         0
        .size:           4
        .value_kind:     by_value
      - .offset:         4
        .size:           1
        .value_kind:     by_value
      - .offset:         8
        .size:           48
        .value_kind:     by_value
      - .offset:         56
        .size:           1
        .value_kind:     by_value
      - .offset:         57
        .size:           1
        .value_kind:     by_value
    .group_segment_fixed_size: 65536
    .kernarg_segment_align: 8
    .kernarg_segment_size: 60
    .language:       OpenCL C
    .language_version:
      - 2
      - 0
    .max_flat_workgroup_size: 1024
    .name:           _Z45unrolled_elementwise_kernel_for_multi_outputsILi2EZ4mainEUlffffE_5ArrayIPcLi6EE23TrivialOffsetCalculatorILi4EjES4_ILi2EjEEviT0_T1_T2_T3_
    .private_segment_fixed_size: 48
    .sgpr_count:     26
    .sgpr_spill_count: 0
    .symbol:         _Z45unrolled_elementwise_kernel_for_multi_outputsILi2EZ4mainEUlffffE_5ArrayIPcLi6EE23TrivialOffsetCalculatorILi4EjES4_ILi2EjEEviT0_T1_T2_T3_.kd
    .uniform_work_group_size: 1
    .uses_dynamic_stack: false
    .vgpr_count:     16
    .vgpr_spill_count: 0
    .wavefront_size: 32
    .workgroup_processor_mode: 1
amdhsa.target:   amdgcn-amd-amdhsa--gfx1100
amdhsa.version:
  - 1
  - 2
...

	.end_amdgpu_metadata
